;; amdgpu-corpus repo=ROCm/rocFFT kind=compiled arch=gfx906 opt=O3
	.text
	.amdgcn_target "amdgcn-amd-amdhsa--gfx906"
	.amdhsa_code_object_version 6
	.protected	fft_rtc_fwd_len336_factors_8_7_6_wgs_112_tpt_56_halfLds_sp_op_CI_CI_unitstride_sbrr_dirReg ; -- Begin function fft_rtc_fwd_len336_factors_8_7_6_wgs_112_tpt_56_halfLds_sp_op_CI_CI_unitstride_sbrr_dirReg
	.globl	fft_rtc_fwd_len336_factors_8_7_6_wgs_112_tpt_56_halfLds_sp_op_CI_CI_unitstride_sbrr_dirReg
	.p2align	8
	.type	fft_rtc_fwd_len336_factors_8_7_6_wgs_112_tpt_56_halfLds_sp_op_CI_CI_unitstride_sbrr_dirReg,@function
fft_rtc_fwd_len336_factors_8_7_6_wgs_112_tpt_56_halfLds_sp_op_CI_CI_unitstride_sbrr_dirReg: ; @fft_rtc_fwd_len336_factors_8_7_6_wgs_112_tpt_56_halfLds_sp_op_CI_CI_unitstride_sbrr_dirReg
; %bb.0:
	s_load_dwordx4 s[8:11], s[4:5], 0x58
	s_load_dwordx4 s[12:15], s[4:5], 0x0
	;; [unrolled: 1-line block ×3, first 2 shown]
	v_mul_u32_u24_e32 v1, 0x493, v0
	v_lshrrev_b32_e32 v25, 16, v1
	v_mov_b32_e32 v3, 0
	s_waitcnt lgkmcnt(0)
	v_cmp_lt_u64_e64 s[0:1], s[14:15], 2
	v_mov_b32_e32 v1, 0
	v_lshl_add_u32 v5, s6, 1, v25
	v_mov_b32_e32 v6, v3
	s_and_b64 vcc, exec, s[0:1]
	v_mov_b32_e32 v2, 0
	s_cbranch_vccnz .LBB0_8
; %bb.1:
	s_load_dwordx2 s[0:1], s[4:5], 0x10
	s_add_u32 s2, s18, 8
	s_addc_u32 s3, s19, 0
	s_add_u32 s6, s16, 8
	v_mov_b32_e32 v1, 0
	s_addc_u32 s7, s17, 0
	v_mov_b32_e32 v2, 0
	s_waitcnt lgkmcnt(0)
	s_add_u32 s20, s0, 8
	v_mov_b32_e32 v16, v2
	s_addc_u32 s21, s1, 0
	s_mov_b64 s[22:23], 1
	v_mov_b32_e32 v15, v1
.LBB0_2:                                ; =>This Inner Loop Header: Depth=1
	s_load_dwordx2 s[24:25], s[20:21], 0x0
                                        ; implicit-def: $vgpr17_vgpr18
	s_waitcnt lgkmcnt(0)
	v_or_b32_e32 v4, s25, v6
	v_cmp_ne_u64_e32 vcc, 0, v[3:4]
	s_and_saveexec_b64 s[0:1], vcc
	s_xor_b64 s[26:27], exec, s[0:1]
	s_cbranch_execz .LBB0_4
; %bb.3:                                ;   in Loop: Header=BB0_2 Depth=1
	v_cvt_f32_u32_e32 v4, s24
	v_cvt_f32_u32_e32 v7, s25
	s_sub_u32 s0, 0, s24
	s_subb_u32 s1, 0, s25
	v_mac_f32_e32 v4, 0x4f800000, v7
	v_rcp_f32_e32 v4, v4
	v_mul_f32_e32 v4, 0x5f7ffffc, v4
	v_mul_f32_e32 v7, 0x2f800000, v4
	v_trunc_f32_e32 v7, v7
	v_mac_f32_e32 v4, 0xcf800000, v7
	v_cvt_u32_f32_e32 v7, v7
	v_cvt_u32_f32_e32 v4, v4
	v_mul_lo_u32 v8, s0, v7
	v_mul_hi_u32 v9, s0, v4
	v_mul_lo_u32 v11, s1, v4
	v_mul_lo_u32 v10, s0, v4
	v_add_u32_e32 v8, v9, v8
	v_add_u32_e32 v8, v8, v11
	v_mul_hi_u32 v9, v4, v10
	v_mul_lo_u32 v11, v4, v8
	v_mul_hi_u32 v13, v4, v8
	v_mul_hi_u32 v12, v7, v10
	v_mul_lo_u32 v10, v7, v10
	v_mul_hi_u32 v14, v7, v8
	v_add_co_u32_e32 v9, vcc, v9, v11
	v_addc_co_u32_e32 v11, vcc, 0, v13, vcc
	v_mul_lo_u32 v8, v7, v8
	v_add_co_u32_e32 v9, vcc, v9, v10
	v_addc_co_u32_e32 v9, vcc, v11, v12, vcc
	v_addc_co_u32_e32 v10, vcc, 0, v14, vcc
	v_add_co_u32_e32 v8, vcc, v9, v8
	v_addc_co_u32_e32 v9, vcc, 0, v10, vcc
	v_add_co_u32_e32 v4, vcc, v4, v8
	v_addc_co_u32_e32 v7, vcc, v7, v9, vcc
	v_mul_lo_u32 v8, s0, v7
	v_mul_hi_u32 v9, s0, v4
	v_mul_lo_u32 v10, s1, v4
	v_mul_lo_u32 v11, s0, v4
	v_add_u32_e32 v8, v9, v8
	v_add_u32_e32 v8, v8, v10
	v_mul_lo_u32 v12, v4, v8
	v_mul_hi_u32 v13, v4, v11
	v_mul_hi_u32 v14, v4, v8
	;; [unrolled: 1-line block ×3, first 2 shown]
	v_mul_lo_u32 v11, v7, v11
	v_mul_hi_u32 v9, v7, v8
	v_add_co_u32_e32 v12, vcc, v13, v12
	v_addc_co_u32_e32 v13, vcc, 0, v14, vcc
	v_mul_lo_u32 v8, v7, v8
	v_add_co_u32_e32 v11, vcc, v12, v11
	v_addc_co_u32_e32 v10, vcc, v13, v10, vcc
	v_addc_co_u32_e32 v9, vcc, 0, v9, vcc
	v_add_co_u32_e32 v8, vcc, v10, v8
	v_addc_co_u32_e32 v9, vcc, 0, v9, vcc
	v_add_co_u32_e32 v4, vcc, v4, v8
	v_addc_co_u32_e32 v9, vcc, v7, v9, vcc
	v_mad_u64_u32 v[7:8], s[0:1], v5, v9, 0
	v_mul_hi_u32 v10, v5, v4
	v_add_co_u32_e32 v11, vcc, v10, v7
	v_addc_co_u32_e32 v12, vcc, 0, v8, vcc
	v_mad_u64_u32 v[7:8], s[0:1], v6, v4, 0
	v_mad_u64_u32 v[9:10], s[0:1], v6, v9, 0
	v_add_co_u32_e32 v4, vcc, v11, v7
	v_addc_co_u32_e32 v4, vcc, v12, v8, vcc
	v_addc_co_u32_e32 v7, vcc, 0, v10, vcc
	v_add_co_u32_e32 v4, vcc, v4, v9
	v_addc_co_u32_e32 v9, vcc, 0, v7, vcc
	v_mul_lo_u32 v10, s25, v4
	v_mul_lo_u32 v11, s24, v9
	v_mad_u64_u32 v[7:8], s[0:1], s24, v4, 0
	v_add3_u32 v8, v8, v11, v10
	v_sub_u32_e32 v10, v6, v8
	v_mov_b32_e32 v11, s25
	v_sub_co_u32_e32 v7, vcc, v5, v7
	v_subb_co_u32_e64 v10, s[0:1], v10, v11, vcc
	v_subrev_co_u32_e64 v11, s[0:1], s24, v7
	v_subbrev_co_u32_e64 v10, s[0:1], 0, v10, s[0:1]
	v_cmp_le_u32_e64 s[0:1], s25, v10
	v_cndmask_b32_e64 v12, 0, -1, s[0:1]
	v_cmp_le_u32_e64 s[0:1], s24, v11
	v_cndmask_b32_e64 v11, 0, -1, s[0:1]
	v_cmp_eq_u32_e64 s[0:1], s25, v10
	v_cndmask_b32_e64 v10, v12, v11, s[0:1]
	v_add_co_u32_e64 v11, s[0:1], 2, v4
	v_addc_co_u32_e64 v12, s[0:1], 0, v9, s[0:1]
	v_add_co_u32_e64 v13, s[0:1], 1, v4
	v_addc_co_u32_e64 v14, s[0:1], 0, v9, s[0:1]
	v_subb_co_u32_e32 v8, vcc, v6, v8, vcc
	v_cmp_ne_u32_e64 s[0:1], 0, v10
	v_cmp_le_u32_e32 vcc, s25, v8
	v_cndmask_b32_e64 v10, v14, v12, s[0:1]
	v_cndmask_b32_e64 v12, 0, -1, vcc
	v_cmp_le_u32_e32 vcc, s24, v7
	v_cndmask_b32_e64 v7, 0, -1, vcc
	v_cmp_eq_u32_e32 vcc, s25, v8
	v_cndmask_b32_e32 v7, v12, v7, vcc
	v_cmp_ne_u32_e32 vcc, 0, v7
	v_cndmask_b32_e64 v7, v13, v11, s[0:1]
	v_cndmask_b32_e32 v18, v9, v10, vcc
	v_cndmask_b32_e32 v17, v4, v7, vcc
.LBB0_4:                                ;   in Loop: Header=BB0_2 Depth=1
	s_andn2_saveexec_b64 s[0:1], s[26:27]
	s_cbranch_execz .LBB0_6
; %bb.5:                                ;   in Loop: Header=BB0_2 Depth=1
	v_cvt_f32_u32_e32 v4, s24
	s_sub_i32 s26, 0, s24
	v_mov_b32_e32 v18, v3
	v_rcp_iflag_f32_e32 v4, v4
	v_mul_f32_e32 v4, 0x4f7ffffe, v4
	v_cvt_u32_f32_e32 v4, v4
	v_mul_lo_u32 v7, s26, v4
	v_mul_hi_u32 v7, v4, v7
	v_add_u32_e32 v4, v4, v7
	v_mul_hi_u32 v4, v5, v4
	v_mul_lo_u32 v7, v4, s24
	v_add_u32_e32 v8, 1, v4
	v_sub_u32_e32 v7, v5, v7
	v_subrev_u32_e32 v9, s24, v7
	v_cmp_le_u32_e32 vcc, s24, v7
	v_cndmask_b32_e32 v7, v7, v9, vcc
	v_cndmask_b32_e32 v4, v4, v8, vcc
	v_add_u32_e32 v8, 1, v4
	v_cmp_le_u32_e32 vcc, s24, v7
	v_cndmask_b32_e32 v17, v4, v8, vcc
.LBB0_6:                                ;   in Loop: Header=BB0_2 Depth=1
	s_or_b64 exec, exec, s[0:1]
	v_mul_lo_u32 v4, v18, s24
	v_mul_lo_u32 v9, v17, s25
	v_mad_u64_u32 v[7:8], s[0:1], v17, s24, 0
	s_load_dwordx2 s[0:1], s[6:7], 0x0
	s_load_dwordx2 s[24:25], s[2:3], 0x0
	v_add3_u32 v4, v8, v9, v4
	v_sub_co_u32_e32 v5, vcc, v5, v7
	v_subb_co_u32_e32 v4, vcc, v6, v4, vcc
	s_waitcnt lgkmcnt(0)
	v_mul_lo_u32 v6, s0, v4
	v_mul_lo_u32 v7, s1, v5
	v_mad_u64_u32 v[1:2], s[0:1], s0, v5, v[1:2]
	v_mul_lo_u32 v4, s24, v4
	v_mul_lo_u32 v8, s25, v5
	v_mad_u64_u32 v[15:16], s[0:1], s24, v5, v[15:16]
	s_add_u32 s22, s22, 1
	s_addc_u32 s23, s23, 0
	s_add_u32 s2, s2, 8
	v_add3_u32 v16, v8, v16, v4
	s_addc_u32 s3, s3, 0
	v_mov_b32_e32 v4, s14
	s_add_u32 s6, s6, 8
	v_mov_b32_e32 v5, s15
	s_addc_u32 s7, s7, 0
	v_cmp_ge_u64_e32 vcc, s[22:23], v[4:5]
	s_add_u32 s20, s20, 8
	v_add3_u32 v2, v7, v2, v6
	s_addc_u32 s21, s21, 0
	s_cbranch_vccnz .LBB0_9
; %bb.7:                                ;   in Loop: Header=BB0_2 Depth=1
	v_mov_b32_e32 v5, v17
	v_mov_b32_e32 v6, v18
	s_branch .LBB0_2
.LBB0_8:
	v_mov_b32_e32 v16, v2
	v_mov_b32_e32 v18, v6
	;; [unrolled: 1-line block ×4, first 2 shown]
.LBB0_9:
	s_lshl_b64 s[14:15], s[14:15], 3
	s_load_dwordx2 s[0:1], s[4:5], 0x28
	s_add_u32 s2, s18, s14
	s_mov_b32 s3, 0x4924925
	v_mul_hi_u32 v3, v0, s3
	s_addc_u32 s3, s19, s15
	s_load_dwordx2 s[4:5], s[2:3], 0x0
	s_waitcnt lgkmcnt(0)
	v_cmp_gt_u64_e32 vcc, s[0:1], v[17:18]
	v_mul_u32_u24_e32 v3, 56, v3
	v_sub_u32_e32 v20, v0, v3
	v_mov_b32_e32 v12, 0
	v_mov_b32_e32 v19, 0
	;; [unrolled: 1-line block ×9, first 2 shown]
                                        ; implicit-def: $vgpr22
                                        ; implicit-def: $vgpr8
                                        ; implicit-def: $vgpr24
                                        ; implicit-def: $vgpr10
	s_and_saveexec_b64 s[2:3], vcc
	s_cbranch_execz .LBB0_13
; %bb.10:
	v_cmp_gt_u32_e64 s[0:1], 42, v20
	v_mov_b32_e32 v3, 0
	v_mov_b32_e32 v4, 0
	;; [unrolled: 1-line block ×8, first 2 shown]
                                        ; implicit-def: $vgpr9
                                        ; implicit-def: $vgpr23
                                        ; implicit-def: $vgpr7
                                        ; implicit-def: $vgpr21
	s_and_saveexec_b64 s[6:7], s[0:1]
	s_cbranch_execz .LBB0_12
; %bb.11:
	s_add_u32 s0, s16, s14
	s_addc_u32 s1, s17, s15
	s_load_dwordx2 s[0:1], s[0:1], 0x0
	v_mov_b32_e32 v6, s9
	v_mov_b32_e32 v21, 0
	s_waitcnt lgkmcnt(0)
	v_mul_lo_u32 v0, s1, v17
	v_mul_lo_u32 v5, s0, v18
	v_mad_u64_u32 v[3:4], s[0:1], s0, v17, 0
	v_add3_u32 v4, v4, v5, v0
	v_lshlrev_b64 v[3:4], 3, v[3:4]
	v_lshlrev_b64 v[0:1], 3, v[1:2]
	v_add_co_u32_e64 v3, s[0:1], s8, v3
	v_addc_co_u32_e64 v4, s[0:1], v6, v4, s[0:1]
	v_add_co_u32_e64 v2, s[0:1], v3, v0
	v_addc_co_u32_e64 v3, s[0:1], v4, v1, s[0:1]
	v_lshlrev_b64 v[0:1], 3, v[20:21]
	v_add_co_u32_e64 v0, s[0:1], v2, v0
	v_addc_co_u32_e64 v1, s[0:1], v3, v1, s[0:1]
	global_load_dwordx2 v[11:12], v[0:1], off
	global_load_dwordx2 v[5:6], v[0:1], off offset:336
	global_load_dwordx2 v[13:14], v[0:1], off offset:672
	;; [unrolled: 1-line block ×7, first 2 shown]
.LBB0_12:
	s_or_b64 exec, exec, s[6:7]
	v_mov_b32_e32 v19, v20
.LBB0_13:
	s_or_b64 exec, exec, s[2:3]
	s_waitcnt vmcnt(3)
	v_sub_f32_e32 v21, v11, v21
	s_waitcnt vmcnt(1)
	v_sub_f32_e32 v0, v13, v23
	v_fma_f32 v11, v11, 2.0, -v21
	v_sub_f32_e32 v1, v14, v24
	v_fma_f32 v13, v13, 2.0, -v0
	v_sub_f32_e32 v8, v6, v8
	v_sub_f32_e32 v7, v5, v7
	v_fma_f32 v2, v6, 2.0, -v8
	s_waitcnt vmcnt(0)
	v_sub_f32_e32 v6, v3, v9
	v_sub_f32_e32 v9, v4, v10
	;; [unrolled: 1-line block ×4, first 2 shown]
	v_fma_f32 v10, v4, 2.0, -v9
	v_fma_f32 v4, v11, 2.0, -v24
	;; [unrolled: 1-line block ×3, first 2 shown]
	v_sub_f32_e32 v23, v7, v9
	v_fma_f32 v5, v5, 2.0, -v7
	v_fma_f32 v3, v3, 2.0, -v6
	v_add_f32_e32 v26, v8, v6
	v_fma_f32 v27, v7, 2.0, -v23
	v_mov_b32_e32 v9, v11
	v_sub_f32_e32 v3, v5, v3
	v_fma_f32 v28, v8, 2.0, -v26
	v_fmac_f32_e32 v9, 0xbf3504f3, v27
	v_fma_f32 v5, v5, 2.0, -v3
	v_fmac_f32_e32 v9, 0xbf3504f3, v28
	v_sub_f32_e32 v8, v4, v5
	v_fma_f32 v5, v11, 2.0, -v9
	v_and_b32_e32 v6, 1, v25
	v_mov_b32_e32 v11, v29
	v_mov_b32_e32 v7, 0x150
	v_cmp_eq_u32_e64 s[0:1], 1, v6
	v_sub_f32_e32 v13, v2, v10
	v_fmac_f32_e32 v11, 0x3f3504f3, v23
	v_cndmask_b32_e64 v21, 0, v7, s[0:1]
	v_sub_f32_e32 v10, v24, v13
	v_fmac_f32_e32 v11, 0xbf3504f3, v26
	v_fma_f32 v4, v4, 2.0, -v8
	v_fma_f32 v6, v24, 2.0, -v10
	;; [unrolled: 1-line block ×3, first 2 shown]
	v_cmp_gt_u32_e64 s[2:3], 42, v20
	v_lshlrev_b32_e32 v24, 5, v20
	v_lshlrev_b32_e32 v21, 2, v21
	s_and_saveexec_b64 s[0:1], s[2:3]
	s_cbranch_execz .LBB0_15
; %bb.14:
	v_add3_u32 v25, 0, v24, v21
	ds_write2_b64 v25, v[4:5], v[6:7] offset1:1
	ds_write2_b64 v25, v[8:9], v[10:11] offset0:2 offset1:3
.LBB0_15:
	s_or_b64 exec, exec, s[0:1]
	v_mul_f32_e32 v27, 0x3f3504f3, v27
	v_mul_f32_e32 v28, 0x3f3504f3, v28
	;; [unrolled: 1-line block ×4, first 2 shown]
	v_cmp_gt_u32_e64 s[0:1], 48, v20
	v_lshlrev_b32_e32 v23, 2, v20
	s_waitcnt lgkmcnt(0)
	s_barrier
	s_and_saveexec_b64 s[6:7], s[0:1]
	s_cbranch_execz .LBB0_17
; %bb.16:
	v_add3_u32 v4, 0, v21, v23
	v_add3_u32 v9, 0, v23, v21
	ds_read_b32 v4, v4
	ds_read2_b32 v[5:6], v9 offset0:48 offset1:96
	ds_read2_b32 v[7:8], v9 offset0:144 offset1:192
	v_add_u32_e32 v9, 0x200, v9
	ds_read2_b32 v[9:10], v9 offset0:112 offset1:160
.LBB0_17:
	s_or_b64 exec, exec, s[6:7]
	v_sub_f32_e32 v11, v12, v22
	v_fma_f32 v12, v12, 2.0, -v11
	v_fma_f32 v1, v14, 2.0, -v1
	v_sub_f32_e32 v14, v12, v1
	v_fma_f32 v1, v12, 2.0, -v14
	v_add_f32_e32 v22, v11, v0
	v_fma_f32 v0, v2, 2.0, -v13
	v_fma_f32 v29, v11, 2.0, -v22
	v_sub_f32_e32 v11, v1, v0
	v_fma_f32 v0, v1, 2.0, -v11
	v_sub_f32_e32 v1, v29, v28
	v_add_f32_e32 v13, v14, v3
	v_add_f32_e32 v3, v22, v26
	;; [unrolled: 1-line block ×3, first 2 shown]
	v_fma_f32 v2, v14, 2.0, -v13
	v_add_f32_e32 v14, v25, v3
	v_fma_f32 v1, v29, 2.0, -v12
	v_fma_f32 v3, v22, 2.0, -v14
	s_waitcnt lgkmcnt(0)
	s_barrier
	s_and_saveexec_b64 s[6:7], s[2:3]
	s_cbranch_execz .LBB0_19
; %bb.18:
	v_add3_u32 v22, 0, v24, v21
	ds_write2_b64 v22, v[0:1], v[2:3] offset1:1
	ds_write2_b64 v22, v[11:12], v[13:14] offset0:2 offset1:3
.LBB0_19:
	s_or_b64 exec, exec, s[6:7]
	s_waitcnt lgkmcnt(0)
	s_barrier
	s_and_saveexec_b64 s[2:3], s[0:1]
	s_cbranch_execz .LBB0_21
; %bb.20:
	v_add3_u32 v0, 0, v21, v23
	v_add3_u32 v3, 0, v23, v21
	ds_read_b32 v0, v0
	ds_read2_b32 v[1:2], v3 offset0:48 offset1:96
	ds_read2_b32 v[24:25], v3 offset0:144 offset1:192
	v_add_u32_e32 v3, 0x200, v3
	ds_read2_b32 v[12:13], v3 offset0:112 offset1:160
	s_waitcnt lgkmcnt(1)
	v_mov_b32_e32 v11, v25
	v_mov_b32_e32 v3, v24
.LBB0_21:
	s_or_b64 exec, exec, s[2:3]
	v_and_b32_e32 v14, 7, v20
	v_mul_u32_u24_e32 v22, 6, v14
	v_lshlrev_b32_e32 v34, 3, v22
	global_load_dwordx4 v[26:29], v34, s[12:13]
	global_load_dwordx4 v[30:33], v34, s[12:13] offset:16
	s_waitcnt vmcnt(1)
	v_mul_f32_e32 v22, v5, v27
	global_load_dwordx4 v[34:37], v34, s[12:13] offset:32
	v_mul_f32_e32 v25, v1, v27
	v_mul_f32_e32 v27, v2, v29
	v_fmac_f32_e32 v22, v1, v26
	v_fma_f32 v25, v5, v26, -v25
	v_fma_f32 v26, v6, v28, -v27
	v_mul_f32_e32 v24, v6, v29
	v_fmac_f32_e32 v24, v2, v28
	s_waitcnt vmcnt(1)
	v_mul_f32_e32 v28, v8, v33
	v_mul_f32_e32 v29, v7, v31
	v_fmac_f32_e32 v28, v11, v32
	v_fmac_f32_e32 v29, v3, v30
	s_waitcnt vmcnt(0) lgkmcnt(0)
	s_barrier
	v_mul_f32_e32 v1, v12, v35
	v_fma_f32 v27, v9, v34, -v1
	v_mul_f32_e32 v9, v9, v35
	v_mul_f32_e32 v1, v13, v37
	v_fmac_f32_e32 v9, v12, v34
	v_fma_f32 v12, v10, v36, -v1
	v_mul_f32_e32 v10, v10, v37
	v_mul_f32_e32 v1, v11, v33
	v_fmac_f32_e32 v10, v13, v36
	v_fma_f32 v13, v8, v32, -v1
	v_mul_f32_e32 v1, v3, v31
	v_fma_f32 v11, v7, v30, -v1
	v_lshrrev_b32_e32 v7, 3, v20
	s_and_saveexec_b64 s[2:3], s[0:1]
	s_cbranch_execz .LBB0_23
; %bb.22:
	v_add_f32_e32 v1, v25, v12
	v_add_f32_e32 v5, v26, v27
	;; [unrolled: 1-line block ×4, first 2 shown]
	v_sub_f32_e32 v3, v1, v2
	v_sub_f32_e32 v6, v2, v5
	v_add_f32_e32 v2, v2, v8
	v_add_f32_e32 v4, v4, v2
	v_mov_b32_e32 v8, v4
	v_fmac_f32_e32 v8, 0xbf955555, v2
	v_sub_f32_e32 v2, v22, v10
	v_sub_f32_e32 v30, v28, v29
	v_sub_f32_e32 v32, v24, v9
	v_sub_f32_e32 v31, v2, v30
	v_sub_f32_e32 v1, v5, v1
	v_sub_f32_e32 v5, v30, v32
	v_add_f32_e32 v30, v30, v32
	v_mul_f32_e32 v5, 0xbf08b237, v5
	v_add_f32_e32 v30, v30, v2
	v_sub_f32_e32 v2, v32, v2
	v_mov_b32_e32 v32, v5
	s_mov_b32 s6, 0xbeae86e6
	v_mul_f32_e32 v33, 0x3f5ff5aa, v2
	v_fmac_f32_e32 v32, 0x3eae86e6, v31
	v_fma_f32 v31, v31, s6, -v33
	v_mul_f32_e32 v3, 0x3f4a47b2, v3
	s_mov_b32 s6, 0x3f5ff5aa
	v_fma_f32 v2, v2, s6, -v5
	v_mov_b32_e32 v5, v3
	s_mov_b32 s6, 0xbf3bfb3b
	v_fmac_f32_e32 v5, 0x3d64c772, v6
	v_mul_f32_e32 v6, 0x3d64c772, v6
	v_fma_f32 v3, v1, s6, -v3
	s_mov_b32 s6, 0x3f3bfb3b
	v_fma_f32 v1, v1, s6, -v6
	v_add_f32_e32 v5, v5, v8
	v_fmac_f32_e32 v32, 0x3ee1c552, v30
	v_fmac_f32_e32 v31, 0x3ee1c552, v30
	;; [unrolled: 1-line block ×3, first 2 shown]
	v_add_f32_e32 v3, v3, v8
	v_add_f32_e32 v1, v1, v8
	v_sub_f32_e32 v30, v5, v32
	v_sub_f32_e32 v6, v3, v31
	v_add_f32_e32 v8, v2, v1
	v_sub_f32_e32 v1, v1, v2
	v_add_f32_e32 v2, v31, v3
	v_add_f32_e32 v3, v32, v5
	v_mul_u32_u24_e32 v5, 56, v7
	v_or_b32_e32 v5, v5, v14
	v_lshlrev_b32_e32 v5, 2, v5
	v_add3_u32 v5, 0, v5, v21
	ds_write2_b32 v5, v4, v3 offset1:8
	ds_write2_b32 v5, v2, v1 offset0:16 offset1:24
	ds_write2_b32 v5, v8, v6 offset0:32 offset1:40
	ds_write_b32 v5, v30 offset:192
.LBB0_23:
	s_or_b64 exec, exec, s[2:3]
	v_add3_u32 v8, 0, v23, v21
	s_waitcnt lgkmcnt(0)
	s_barrier
	v_add3_u32 v30, 0, v21, v23
	ds_read2_b32 v[1:2], v8 offset0:56 offset1:112
	ds_read2_b32 v[3:4], v8 offset0:168 offset1:224
	ds_read_b32 v5, v30
	ds_read_b32 v6, v8 offset:1120
	s_waitcnt lgkmcnt(0)
	s_barrier
	s_and_saveexec_b64 s[2:3], s[0:1]
	s_cbranch_execz .LBB0_25
; %bb.24:
	v_add_f32_e32 v10, v22, v10
	v_add_f32_e32 v9, v24, v9
	;; [unrolled: 1-line block ×3, first 2 shown]
	v_sub_f32_e32 v11, v13, v11
	v_add_f32_e32 v13, v9, v10
	v_add_f32_e32 v13, v23, v13
	v_sub_f32_e32 v22, v26, v27
	v_sub_f32_e32 v24, v9, v10
	;; [unrolled: 1-line block ×3, first 2 shown]
	v_add_f32_e32 v0, v0, v13
	v_sub_f32_e32 v12, v25, v12
	v_sub_f32_e32 v10, v10, v23
	v_add_f32_e32 v25, v11, v22
	v_sub_f32_e32 v26, v11, v22
	v_mul_f32_e32 v23, 0x3d64c772, v9
	v_mov_b32_e32 v27, v0
	s_mov_b32 s1, 0x3f3bfb3b
	v_sub_f32_e32 v11, v12, v11
	v_sub_f32_e32 v22, v22, v12
	v_add_f32_e32 v12, v25, v12
	v_mul_f32_e32 v10, 0x3f4a47b2, v10
	v_mul_f32_e32 v25, 0xbf08b237, v26
	s_mov_b32 s0, 0x3f5ff5aa
	v_fmac_f32_e32 v27, 0xbf955555, v13
	v_fma_f32 v13, v24, s1, -v23
	s_mov_b32 s1, 0xbf3bfb3b
	v_mul_u32_u24_e32 v7, 56, v7
	v_mul_f32_e32 v26, 0x3f5ff5aa, v22
	v_fma_f32 v23, v24, s1, -v10
	v_fmac_f32_e32 v10, 0x3d64c772, v9
	v_fma_f32 v9, v22, s0, -v25
	v_fmac_f32_e32 v25, 0x3eae86e6, v11
	s_mov_b32 s0, 0xbeae86e6
	v_or_b32_e32 v7, v7, v14
	v_fma_f32 v11, v11, s0, -v26
	v_add_f32_e32 v10, v10, v27
	v_fmac_f32_e32 v25, 0x3ee1c552, v12
	v_lshlrev_b32_e32 v7, 2, v7
	v_add_f32_e32 v13, v13, v27
	v_add_f32_e32 v22, v23, v27
	v_fmac_f32_e32 v9, 0x3ee1c552, v12
	v_fmac_f32_e32 v11, 0x3ee1c552, v12
	v_sub_f32_e32 v12, v10, v25
	v_add3_u32 v7, 0, v7, v21
	v_sub_f32_e32 v23, v22, v11
	v_add_f32_e32 v24, v9, v13
	v_sub_f32_e32 v9, v13, v9
	v_add_f32_e32 v11, v11, v22
	v_add_f32_e32 v10, v25, v10
	ds_write2_b32 v7, v0, v12 offset1:8
	ds_write2_b32 v7, v23, v24 offset0:16 offset1:24
	ds_write2_b32 v7, v9, v11 offset0:32 offset1:40
	ds_write_b32 v7, v10 offset:192
.LBB0_25:
	s_or_b64 exec, exec, s[2:3]
	s_waitcnt lgkmcnt(0)
	s_barrier
	s_and_saveexec_b64 s[0:1], vcc
	s_cbranch_execz .LBB0_27
; %bb.26:
	v_mul_u32_u24_e32 v0, 5, v20
	v_lshlrev_b32_e32 v0, 3, v0
	global_load_dwordx4 v[9:12], v0, s[12:13] offset:400
	global_load_dwordx4 v[21:24], v0, s[12:13] offset:384
	global_load_dwordx2 v[13:14], v0, s[12:13] offset:416
	v_mul_lo_u32 v0, s5, v17
	v_mul_lo_u32 v7, s4, v18
	v_mad_u64_u32 v[17:18], s[0:1], s4, v17, 0
	ds_read2_b32 v[25:26], v8 offset0:56 offset1:112
	ds_read2_b32 v[27:28], v8 offset0:168 offset1:224
	ds_read_b32 v29, v30
	ds_read_b32 v30, v8 offset:1120
	v_mov_b32_e32 v31, s11
	v_add3_u32 v18, v18, v7, v0
	v_lshlrev_b64 v[7:8], 3, v[17:18]
	v_mov_b32_e32 v20, 0
	s_waitcnt vmcnt(2) lgkmcnt(2)
	v_mul_f32_e32 v0, v28, v12
	v_mul_f32_e32 v17, v27, v10
	;; [unrolled: 1-line block ×3, first 2 shown]
	v_fma_f32 v0, v4, v11, -v0
	v_fma_f32 v4, v3, v9, -v17
	v_mul_f32_e32 v3, v3, v10
	s_waitcnt vmcnt(0) lgkmcnt(0)
	v_mul_f32_e32 v17, v30, v14
	v_mul_f32_e32 v14, v6, v14
	;; [unrolled: 1-line block ×3, first 2 shown]
	v_fmac_f32_e32 v3, v9, v27
	v_mul_f32_e32 v18, v1, v22
	v_fmac_f32_e32 v14, v13, v30
	v_fmac_f32_e32 v12, v11, v28
	v_mul_f32_e32 v9, v2, v24
	v_mul_f32_e32 v11, v25, v22
	v_fma_f32 v2, v2, v23, -v10
	v_fma_f32 v6, v6, v13, -v17
	v_fmac_f32_e32 v18, v21, v25
	v_add_f32_e32 v22, v3, v14
	v_fma_f32 v1, v1, v21, -v11
	v_fmac_f32_e32 v9, v23, v26
	v_add_f32_e32 v13, v4, v6
	v_sub_f32_e32 v17, v3, v14
	v_add_f32_e32 v3, v18, v3
	v_add_f32_e32 v24, v2, v0
	v_fma_f32 v18, -0.5, v22, v18
	v_add_f32_e32 v11, v9, v12
	v_sub_f32_e32 v21, v4, v6
	v_add_f32_e32 v23, v9, v29
	v_fma_f32 v13, -0.5, v13, v1
	v_add_f32_e32 v3, v3, v14
	v_fma_f32 v14, -0.5, v24, v5
	v_mov_b32_e32 v22, v18
	v_sub_f32_e32 v10, v2, v0
	v_sub_f32_e32 v9, v9, v12
	v_add_f32_e32 v2, v5, v2
	v_add_f32_e32 v4, v1, v4
	v_fma_f32 v11, -0.5, v11, v29
	v_add_f32_e32 v12, v12, v23
	v_mov_b32_e32 v5, v13
	v_fmac_f32_e32 v18, 0xbf5db3d7, v21
	v_mov_b32_e32 v23, v14
	v_fmac_f32_e32 v22, 0x3f5db3d7, v21
	v_add_f32_e32 v4, v4, v6
	v_mov_b32_e32 v6, v11
	v_fmac_f32_e32 v13, 0x3f5db3d7, v17
	v_fmac_f32_e32 v14, 0x3f5db3d7, v9
	;; [unrolled: 1-line block ×4, first 2 shown]
	v_mul_f32_e32 v9, 0x3f5db3d7, v18
	v_mul_f32_e32 v17, -0.5, v22
	v_add_f32_e32 v2, v2, v0
	v_fmac_f32_e32 v6, 0x3f5db3d7, v10
	v_fmac_f32_e32 v9, 0.5, v13
	v_fmac_f32_e32 v17, 0xbf5db3d7, v5
	v_sub_f32_e32 v1, v12, v3
	v_sub_f32_e32 v0, v2, v4
	v_add_f32_e32 v3, v12, v3
	v_add_f32_e32 v2, v2, v4
	v_sub_f32_e32 v4, v14, v9
	v_add_f32_e32 v9, v14, v9
	v_sub_f32_e32 v12, v6, v17
	v_add_f32_e32 v14, v6, v17
	v_add_co_u32_e32 v17, vcc, s10, v7
	v_lshlrev_b64 v[6:7], 3, v[15:16]
	v_addc_co_u32_e32 v8, vcc, v31, v8, vcc
	v_add_co_u32_e32 v15, vcc, v17, v6
	v_addc_co_u32_e32 v8, vcc, v8, v7, vcc
	v_lshlrev_b64 v[6:7], 3, v[19:20]
	v_fmac_f32_e32 v11, 0xbf5db3d7, v10
	v_mul_f32_e32 v10, 0xbf5db3d7, v13
	v_fmac_f32_e32 v10, 0.5, v18
	v_mul_f32_e32 v18, -0.5, v5
	v_add_co_u32_e32 v6, vcc, v15, v6
	v_fmac_f32_e32 v18, 0x3f5db3d7, v22
	v_addc_co_u32_e32 v7, vcc, v8, v7, vcc
	v_sub_f32_e32 v5, v11, v10
	v_add_f32_e32 v10, v11, v10
	v_sub_f32_e32 v11, v23, v18
	v_add_f32_e32 v13, v23, v18
	global_store_dwordx2 v[6:7], v[2:3], off
	global_store_dwordx2 v[6:7], v[9:10], off offset:448
	global_store_dwordx2 v[6:7], v[13:14], off offset:896
	;; [unrolled: 1-line block ×5, first 2 shown]
.LBB0_27:
	s_endpgm
	.section	.rodata,"a",@progbits
	.p2align	6, 0x0
	.amdhsa_kernel fft_rtc_fwd_len336_factors_8_7_6_wgs_112_tpt_56_halfLds_sp_op_CI_CI_unitstride_sbrr_dirReg
		.amdhsa_group_segment_fixed_size 0
		.amdhsa_private_segment_fixed_size 0
		.amdhsa_kernarg_size 104
		.amdhsa_user_sgpr_count 6
		.amdhsa_user_sgpr_private_segment_buffer 1
		.amdhsa_user_sgpr_dispatch_ptr 0
		.amdhsa_user_sgpr_queue_ptr 0
		.amdhsa_user_sgpr_kernarg_segment_ptr 1
		.amdhsa_user_sgpr_dispatch_id 0
		.amdhsa_user_sgpr_flat_scratch_init 0
		.amdhsa_user_sgpr_private_segment_size 0
		.amdhsa_uses_dynamic_stack 0
		.amdhsa_system_sgpr_private_segment_wavefront_offset 0
		.amdhsa_system_sgpr_workgroup_id_x 1
		.amdhsa_system_sgpr_workgroup_id_y 0
		.amdhsa_system_sgpr_workgroup_id_z 0
		.amdhsa_system_sgpr_workgroup_info 0
		.amdhsa_system_vgpr_workitem_id 0
		.amdhsa_next_free_vgpr 38
		.amdhsa_next_free_sgpr 28
		.amdhsa_reserve_vcc 1
		.amdhsa_reserve_flat_scratch 0
		.amdhsa_float_round_mode_32 0
		.amdhsa_float_round_mode_16_64 0
		.amdhsa_float_denorm_mode_32 3
		.amdhsa_float_denorm_mode_16_64 3
		.amdhsa_dx10_clamp 1
		.amdhsa_ieee_mode 1
		.amdhsa_fp16_overflow 0
		.amdhsa_exception_fp_ieee_invalid_op 0
		.amdhsa_exception_fp_denorm_src 0
		.amdhsa_exception_fp_ieee_div_zero 0
		.amdhsa_exception_fp_ieee_overflow 0
		.amdhsa_exception_fp_ieee_underflow 0
		.amdhsa_exception_fp_ieee_inexact 0
		.amdhsa_exception_int_div_zero 0
	.end_amdhsa_kernel
	.text
.Lfunc_end0:
	.size	fft_rtc_fwd_len336_factors_8_7_6_wgs_112_tpt_56_halfLds_sp_op_CI_CI_unitstride_sbrr_dirReg, .Lfunc_end0-fft_rtc_fwd_len336_factors_8_7_6_wgs_112_tpt_56_halfLds_sp_op_CI_CI_unitstride_sbrr_dirReg
                                        ; -- End function
	.section	.AMDGPU.csdata,"",@progbits
; Kernel info:
; codeLenInByte = 3600
; NumSgprs: 32
; NumVgprs: 38
; ScratchSize: 0
; MemoryBound: 0
; FloatMode: 240
; IeeeMode: 1
; LDSByteSize: 0 bytes/workgroup (compile time only)
; SGPRBlocks: 3
; VGPRBlocks: 9
; NumSGPRsForWavesPerEU: 32
; NumVGPRsForWavesPerEU: 38
; Occupancy: 6
; WaveLimiterHint : 1
; COMPUTE_PGM_RSRC2:SCRATCH_EN: 0
; COMPUTE_PGM_RSRC2:USER_SGPR: 6
; COMPUTE_PGM_RSRC2:TRAP_HANDLER: 0
; COMPUTE_PGM_RSRC2:TGID_X_EN: 1
; COMPUTE_PGM_RSRC2:TGID_Y_EN: 0
; COMPUTE_PGM_RSRC2:TGID_Z_EN: 0
; COMPUTE_PGM_RSRC2:TIDIG_COMP_CNT: 0
	.type	__hip_cuid_c9a313831296c3f8,@object ; @__hip_cuid_c9a313831296c3f8
	.section	.bss,"aw",@nobits
	.globl	__hip_cuid_c9a313831296c3f8
__hip_cuid_c9a313831296c3f8:
	.byte	0                               ; 0x0
	.size	__hip_cuid_c9a313831296c3f8, 1

	.ident	"AMD clang version 19.0.0git (https://github.com/RadeonOpenCompute/llvm-project roc-6.4.0 25133 c7fe45cf4b819c5991fe208aaa96edf142730f1d)"
	.section	".note.GNU-stack","",@progbits
	.addrsig
	.addrsig_sym __hip_cuid_c9a313831296c3f8
	.amdgpu_metadata
---
amdhsa.kernels:
  - .args:
      - .actual_access:  read_only
        .address_space:  global
        .offset:         0
        .size:           8
        .value_kind:     global_buffer
      - .offset:         8
        .size:           8
        .value_kind:     by_value
      - .actual_access:  read_only
        .address_space:  global
        .offset:         16
        .size:           8
        .value_kind:     global_buffer
      - .actual_access:  read_only
        .address_space:  global
        .offset:         24
        .size:           8
        .value_kind:     global_buffer
      - .actual_access:  read_only
        .address_space:  global
        .offset:         32
        .size:           8
        .value_kind:     global_buffer
      - .offset:         40
        .size:           8
        .value_kind:     by_value
      - .actual_access:  read_only
        .address_space:  global
        .offset:         48
        .size:           8
        .value_kind:     global_buffer
      - .actual_access:  read_only
        .address_space:  global
        .offset:         56
        .size:           8
        .value_kind:     global_buffer
      - .offset:         64
        .size:           4
        .value_kind:     by_value
      - .actual_access:  read_only
        .address_space:  global
        .offset:         72
        .size:           8
        .value_kind:     global_buffer
      - .actual_access:  read_only
        .address_space:  global
        .offset:         80
        .size:           8
        .value_kind:     global_buffer
      - .actual_access:  read_only
        .address_space:  global
        .offset:         88
        .size:           8
        .value_kind:     global_buffer
      - .actual_access:  write_only
        .address_space:  global
        .offset:         96
        .size:           8
        .value_kind:     global_buffer
    .group_segment_fixed_size: 0
    .kernarg_segment_align: 8
    .kernarg_segment_size: 104
    .language:       OpenCL C
    .language_version:
      - 2
      - 0
    .max_flat_workgroup_size: 112
    .name:           fft_rtc_fwd_len336_factors_8_7_6_wgs_112_tpt_56_halfLds_sp_op_CI_CI_unitstride_sbrr_dirReg
    .private_segment_fixed_size: 0
    .sgpr_count:     32
    .sgpr_spill_count: 0
    .symbol:         fft_rtc_fwd_len336_factors_8_7_6_wgs_112_tpt_56_halfLds_sp_op_CI_CI_unitstride_sbrr_dirReg.kd
    .uniform_work_group_size: 1
    .uses_dynamic_stack: false
    .vgpr_count:     38
    .vgpr_spill_count: 0
    .wavefront_size: 64
amdhsa.target:   amdgcn-amd-amdhsa--gfx906
amdhsa.version:
  - 1
  - 2
...

	.end_amdgpu_metadata
